;; amdgpu-corpus repo=ROCm/rocFFT kind=compiled arch=gfx906 opt=O3
	.text
	.amdgcn_target "amdgcn-amd-amdhsa--gfx906"
	.amdhsa_code_object_version 6
	.protected	fft_rtc_back_len768_factors_16_3_16_wgs_48_tpt_48_halfLds_sp_op_CI_CI_sbrr_dirReg ; -- Begin function fft_rtc_back_len768_factors_16_3_16_wgs_48_tpt_48_halfLds_sp_op_CI_CI_sbrr_dirReg
	.globl	fft_rtc_back_len768_factors_16_3_16_wgs_48_tpt_48_halfLds_sp_op_CI_CI_sbrr_dirReg
	.p2align	8
	.type	fft_rtc_back_len768_factors_16_3_16_wgs_48_tpt_48_halfLds_sp_op_CI_CI_sbrr_dirReg,@function
fft_rtc_back_len768_factors_16_3_16_wgs_48_tpt_48_halfLds_sp_op_CI_CI_sbrr_dirReg: ; @fft_rtc_back_len768_factors_16_3_16_wgs_48_tpt_48_halfLds_sp_op_CI_CI_sbrr_dirReg
; %bb.0:
	s_load_dwordx4 s[16:19], s[4:5], 0x18
	s_load_dwordx4 s[12:15], s[4:5], 0x0
	;; [unrolled: 1-line block ×3, first 2 shown]
	v_mul_u32_u24_e32 v1, 0x556, v0
	v_mov_b32_e32 v5, 0
	s_waitcnt lgkmcnt(0)
	s_load_dwordx2 s[20:21], s[16:17], 0x0
	s_load_dwordx2 s[2:3], s[18:19], 0x0
	v_cmp_lt_u64_e64 s[0:1], s[14:15], 2
	v_mov_b32_e32 v8, 0
	v_add_u32_sdwa v10, s6, v1 dst_sel:DWORD dst_unused:UNUSED_PAD src0_sel:DWORD src1_sel:WORD_1
	v_mov_b32_e32 v11, v5
	s_and_b64 vcc, exec, s[0:1]
	v_mov_b32_e32 v9, 0
	s_cbranch_vccnz .LBB0_8
; %bb.1:
	s_load_dwordx2 s[0:1], s[4:5], 0x10
	s_add_u32 s6, s18, 8
	s_addc_u32 s7, s19, 0
	s_add_u32 s22, s16, 8
	s_addc_u32 s23, s17, 0
	v_mov_b32_e32 v8, 0
	s_waitcnt lgkmcnt(0)
	s_add_u32 s24, s0, 8
	v_mov_b32_e32 v9, 0
	v_mov_b32_e32 v1, v8
	s_addc_u32 s25, s1, 0
	s_mov_b64 s[26:27], 1
	v_mov_b32_e32 v2, v9
.LBB0_2:                                ; =>This Inner Loop Header: Depth=1
	s_load_dwordx2 s[28:29], s[24:25], 0x0
                                        ; implicit-def: $vgpr3_vgpr4
	s_waitcnt lgkmcnt(0)
	v_or_b32_e32 v6, s29, v11
	v_cmp_ne_u64_e32 vcc, 0, v[5:6]
	s_and_saveexec_b64 s[0:1], vcc
	s_xor_b64 s[30:31], exec, s[0:1]
	s_cbranch_execz .LBB0_4
; %bb.3:                                ;   in Loop: Header=BB0_2 Depth=1
	v_cvt_f32_u32_e32 v3, s28
	v_cvt_f32_u32_e32 v4, s29
	s_sub_u32 s0, 0, s28
	s_subb_u32 s1, 0, s29
	v_mac_f32_e32 v3, 0x4f800000, v4
	v_rcp_f32_e32 v3, v3
	v_mul_f32_e32 v3, 0x5f7ffffc, v3
	v_mul_f32_e32 v4, 0x2f800000, v3
	v_trunc_f32_e32 v4, v4
	v_mac_f32_e32 v3, 0xcf800000, v4
	v_cvt_u32_f32_e32 v4, v4
	v_cvt_u32_f32_e32 v3, v3
	v_mul_lo_u32 v6, s0, v4
	v_mul_hi_u32 v7, s0, v3
	v_mul_lo_u32 v13, s1, v3
	v_mul_lo_u32 v12, s0, v3
	v_add_u32_e32 v6, v7, v6
	v_add_u32_e32 v6, v6, v13
	v_mul_hi_u32 v7, v3, v12
	v_mul_lo_u32 v13, v3, v6
	v_mul_hi_u32 v15, v3, v6
	v_mul_hi_u32 v14, v4, v12
	v_mul_lo_u32 v12, v4, v12
	v_mul_hi_u32 v16, v4, v6
	v_add_co_u32_e32 v7, vcc, v7, v13
	v_addc_co_u32_e32 v13, vcc, 0, v15, vcc
	v_mul_lo_u32 v6, v4, v6
	v_add_co_u32_e32 v7, vcc, v7, v12
	v_addc_co_u32_e32 v7, vcc, v13, v14, vcc
	v_addc_co_u32_e32 v12, vcc, 0, v16, vcc
	v_add_co_u32_e32 v6, vcc, v7, v6
	v_addc_co_u32_e32 v7, vcc, 0, v12, vcc
	v_add_co_u32_e32 v3, vcc, v3, v6
	v_addc_co_u32_e32 v4, vcc, v4, v7, vcc
	v_mul_lo_u32 v6, s0, v4
	v_mul_hi_u32 v7, s0, v3
	v_mul_lo_u32 v12, s1, v3
	v_mul_lo_u32 v13, s0, v3
	v_add_u32_e32 v6, v7, v6
	v_add_u32_e32 v6, v6, v12
	v_mul_lo_u32 v14, v3, v6
	v_mul_hi_u32 v15, v3, v13
	v_mul_hi_u32 v16, v3, v6
	;; [unrolled: 1-line block ×3, first 2 shown]
	v_mul_lo_u32 v13, v4, v13
	v_mul_hi_u32 v7, v4, v6
	v_add_co_u32_e32 v14, vcc, v15, v14
	v_addc_co_u32_e32 v15, vcc, 0, v16, vcc
	v_mul_lo_u32 v6, v4, v6
	v_add_co_u32_e32 v13, vcc, v14, v13
	v_addc_co_u32_e32 v12, vcc, v15, v12, vcc
	v_addc_co_u32_e32 v7, vcc, 0, v7, vcc
	v_add_co_u32_e32 v6, vcc, v12, v6
	v_addc_co_u32_e32 v7, vcc, 0, v7, vcc
	v_add_co_u32_e32 v6, vcc, v3, v6
	v_addc_co_u32_e32 v7, vcc, v4, v7, vcc
	v_mad_u64_u32 v[3:4], s[0:1], v10, v7, 0
	v_mul_hi_u32 v12, v10, v6
	v_add_co_u32_e32 v12, vcc, v12, v3
	v_addc_co_u32_e32 v13, vcc, 0, v4, vcc
	v_mad_u64_u32 v[3:4], s[0:1], v11, v6, 0
	v_mad_u64_u32 v[6:7], s[0:1], v11, v7, 0
	v_add_co_u32_e32 v3, vcc, v12, v3
	v_addc_co_u32_e32 v3, vcc, v13, v4, vcc
	v_addc_co_u32_e32 v4, vcc, 0, v7, vcc
	v_add_co_u32_e32 v6, vcc, v3, v6
	v_addc_co_u32_e32 v7, vcc, 0, v4, vcc
	v_mul_lo_u32 v12, s29, v6
	v_mul_lo_u32 v13, s28, v7
	v_mad_u64_u32 v[3:4], s[0:1], s28, v6, 0
	v_add3_u32 v4, v4, v13, v12
	v_sub_u32_e32 v12, v11, v4
	v_mov_b32_e32 v13, s29
	v_sub_co_u32_e32 v3, vcc, v10, v3
	v_subb_co_u32_e64 v12, s[0:1], v12, v13, vcc
	v_subrev_co_u32_e64 v13, s[0:1], s28, v3
	v_subbrev_co_u32_e64 v12, s[0:1], 0, v12, s[0:1]
	v_cmp_le_u32_e64 s[0:1], s29, v12
	v_cndmask_b32_e64 v14, 0, -1, s[0:1]
	v_cmp_le_u32_e64 s[0:1], s28, v13
	v_cndmask_b32_e64 v13, 0, -1, s[0:1]
	v_cmp_eq_u32_e64 s[0:1], s29, v12
	v_cndmask_b32_e64 v12, v14, v13, s[0:1]
	v_add_co_u32_e64 v13, s[0:1], 2, v6
	v_addc_co_u32_e64 v14, s[0:1], 0, v7, s[0:1]
	v_add_co_u32_e64 v15, s[0:1], 1, v6
	v_addc_co_u32_e64 v16, s[0:1], 0, v7, s[0:1]
	v_subb_co_u32_e32 v4, vcc, v11, v4, vcc
	v_cmp_ne_u32_e64 s[0:1], 0, v12
	v_cmp_le_u32_e32 vcc, s29, v4
	v_cndmask_b32_e64 v12, v16, v14, s[0:1]
	v_cndmask_b32_e64 v14, 0, -1, vcc
	v_cmp_le_u32_e32 vcc, s28, v3
	v_cndmask_b32_e64 v3, 0, -1, vcc
	v_cmp_eq_u32_e32 vcc, s29, v4
	v_cndmask_b32_e32 v3, v14, v3, vcc
	v_cmp_ne_u32_e32 vcc, 0, v3
	v_cndmask_b32_e64 v3, v15, v13, s[0:1]
	v_cndmask_b32_e32 v4, v7, v12, vcc
	v_cndmask_b32_e32 v3, v6, v3, vcc
.LBB0_4:                                ;   in Loop: Header=BB0_2 Depth=1
	s_andn2_saveexec_b64 s[0:1], s[30:31]
	s_cbranch_execz .LBB0_6
; %bb.5:                                ;   in Loop: Header=BB0_2 Depth=1
	v_cvt_f32_u32_e32 v3, s28
	s_sub_i32 s30, 0, s28
	v_rcp_iflag_f32_e32 v3, v3
	v_mul_f32_e32 v3, 0x4f7ffffe, v3
	v_cvt_u32_f32_e32 v3, v3
	v_mul_lo_u32 v4, s30, v3
	v_mul_hi_u32 v4, v3, v4
	v_add_u32_e32 v3, v3, v4
	v_mul_hi_u32 v3, v10, v3
	v_mul_lo_u32 v4, v3, s28
	v_add_u32_e32 v6, 1, v3
	v_sub_u32_e32 v4, v10, v4
	v_subrev_u32_e32 v7, s28, v4
	v_cmp_le_u32_e32 vcc, s28, v4
	v_cndmask_b32_e32 v4, v4, v7, vcc
	v_cndmask_b32_e32 v3, v3, v6, vcc
	v_add_u32_e32 v6, 1, v3
	v_cmp_le_u32_e32 vcc, s28, v4
	v_cndmask_b32_e32 v3, v3, v6, vcc
	v_mov_b32_e32 v4, v5
.LBB0_6:                                ;   in Loop: Header=BB0_2 Depth=1
	s_or_b64 exec, exec, s[0:1]
	v_mul_lo_u32 v12, v4, s28
	v_mul_lo_u32 v13, v3, s29
	v_mad_u64_u32 v[6:7], s[0:1], v3, s28, 0
	s_load_dwordx2 s[0:1], s[22:23], 0x0
	s_load_dwordx2 s[28:29], s[6:7], 0x0
	v_add3_u32 v7, v7, v13, v12
	v_sub_co_u32_e32 v6, vcc, v10, v6
	v_subb_co_u32_e32 v7, vcc, v11, v7, vcc
	s_waitcnt lgkmcnt(0)
	v_mul_lo_u32 v10, s0, v7
	v_mul_lo_u32 v11, s1, v6
	v_mad_u64_u32 v[8:9], s[0:1], s0, v6, v[8:9]
	v_mul_lo_u32 v7, s28, v7
	v_mul_lo_u32 v12, s29, v6
	v_mad_u64_u32 v[1:2], s[0:1], s28, v6, v[1:2]
	s_add_u32 s26, s26, 1
	s_addc_u32 s27, s27, 0
	s_add_u32 s6, s6, 8
	v_add3_u32 v2, v12, v2, v7
	s_addc_u32 s7, s7, 0
	v_mov_b32_e32 v6, s14
	s_add_u32 s22, s22, 8
	v_mov_b32_e32 v7, s15
	s_addc_u32 s23, s23, 0
	v_cmp_ge_u64_e32 vcc, s[26:27], v[6:7]
	s_add_u32 s24, s24, 8
	v_add3_u32 v9, v11, v9, v10
	s_addc_u32 s25, s25, 0
	s_cbranch_vccnz .LBB0_9
; %bb.7:                                ;   in Loop: Header=BB0_2 Depth=1
	v_mov_b32_e32 v11, v4
	v_mov_b32_e32 v10, v3
	s_branch .LBB0_2
.LBB0_8:
	v_mov_b32_e32 v1, v8
	v_mov_b32_e32 v3, v10
	;; [unrolled: 1-line block ×4, first 2 shown]
.LBB0_9:
	s_load_dwordx2 s[0:1], s[4:5], 0x28
	s_lshl_b64 s[14:15], s[14:15], 3
	s_add_u32 s4, s18, s14
	s_addc_u32 s5, s19, s15
                                        ; implicit-def: $sgpr18_sgpr19
                                        ; implicit-def: $sgpr22
                                        ; implicit-def: $vgpr40
                                        ; implicit-def: $vgpr41
                                        ; implicit-def: $vgpr42
                                        ; implicit-def: $vgpr43
                                        ; implicit-def: $vgpr44
                                        ; implicit-def: $vgpr45
	s_waitcnt lgkmcnt(0)
	v_cmp_gt_u64_e32 vcc, s[0:1], v[3:4]
	v_cmp_le_u64_e64 s[0:1], s[0:1], v[3:4]
	s_and_saveexec_b64 s[6:7], s[0:1]
	s_xor_b64 s[0:1], exec, s[6:7]
; %bb.10:
	s_mov_b32 s6, 0x5555556
	v_mul_hi_u32 v5, v0, s6
	s_mov_b32 s22, 0
	s_mov_b64 s[18:19], 0
                                        ; implicit-def: $vgpr8_vgpr9
	v_mul_u32_u24_e32 v5, 48, v5
	v_sub_u32_e32 v40, v0, v5
	v_add_u32_e32 v41, 48, v40
	v_add_u32_e32 v42, 0x60, v40
	;; [unrolled: 1-line block ×3, first 2 shown]
	v_or_b32_e32 v44, 0xc0, v40
	v_add_u32_e32 v45, 0xf0, v40
                                        ; implicit-def: $vgpr0
; %bb.11:
	s_or_saveexec_b64 s[6:7], s[0:1]
	v_mov_b32_e32 v6, s18
	v_mov_b32_e32 v11, s18
	;; [unrolled: 1-line block ×17, first 2 shown]
                                        ; implicit-def: $vgpr10
                                        ; implicit-def: $vgpr16
                                        ; implicit-def: $vgpr20
                                        ; implicit-def: $vgpr14
                                        ; implicit-def: $vgpr32
                                        ; implicit-def: $vgpr18
                                        ; implicit-def: $vgpr30
                                        ; implicit-def: $vgpr34
	s_xor_b64 exec, exec, s[6:7]
	s_cbranch_execz .LBB0_13
; %bb.12:
	s_add_u32 s0, s16, s14
	s_addc_u32 s1, s17, s15
	s_mov_b32 s14, 0x5555556
	v_mul_hi_u32 v5, v0, s14
	s_load_dwordx2 s[0:1], s[0:1], 0x0
	v_mul_u32_u24_e32 v5, 48, v5
	v_sub_u32_e32 v40, v0, v5
	s_waitcnt lgkmcnt(0)
	v_mul_lo_u32 v12, s1, v3
	v_mul_lo_u32 v13, s0, v4
	v_mad_u64_u32 v[10:11], s[0:1], s0, v3, 0
	v_mad_u64_u32 v[5:6], s[14:15], s20, v40, 0
	v_add3_u32 v11, v11, v13, v12
	v_lshlrev_b64 v[10:11], 3, v[10:11]
	v_mov_b32_e32 v0, v6
	v_mad_u64_u32 v[6:7], s[0:1], s21, v40, v[0:1]
	v_mov_b32_e32 v0, s9
	v_add_co_u32_e64 v12, s[0:1], s8, v10
	v_add_u32_e32 v41, 48, v40
	v_addc_co_u32_e64 v0, s[0:1], v0, v11, s[0:1]
	v_lshlrev_b64 v[7:8], 3, v[8:9]
	v_mad_u64_u32 v[9:10], s[0:1], s20, v41, 0
	v_add_co_u32_e64 v13, s[0:1], v12, v7
	v_add_u32_e32 v42, 0x60, v40
	v_addc_co_u32_e64 v14, s[0:1], v0, v8, s[0:1]
	v_mov_b32_e32 v0, v10
	v_mad_u64_u32 v[11:12], s[0:1], s20, v42, 0
	v_mad_u64_u32 v[7:8], s[0:1], s21, v41, v[0:1]
	v_lshlrev_b64 v[5:6], 3, v[5:6]
	v_mov_b32_e32 v0, v12
	v_add_co_u32_e64 v33, s[0:1], v13, v5
	v_addc_co_u32_e64 v34, s[0:1], v14, v6, s[0:1]
	v_mov_b32_e32 v10, v7
	v_mad_u64_u32 v[7:8], s[0:1], s21, v42, v[0:1]
	v_add_u32_e32 v43, 0x90, v40
	v_lshlrev_b64 v[5:6], 3, v[9:10]
	v_mad_u64_u32 v[8:9], s[0:1], s20, v43, 0
	v_add_co_u32_e64 v46, s[0:1], v13, v5
	v_mov_b32_e32 v0, v9
	v_addc_co_u32_e64 v47, s[0:1], v14, v6, s[0:1]
	v_mov_b32_e32 v12, v7
	v_mad_u64_u32 v[9:10], s[0:1], s21, v43, v[0:1]
	v_or_b32_e32 v44, 0xc0, v40
	v_lshlrev_b64 v[5:6], 3, v[11:12]
	v_mad_u64_u32 v[10:11], s[0:1], s20, v44, 0
	v_add_co_u32_e64 v48, s[0:1], v13, v5
	v_mov_b32_e32 v0, v11
	v_addc_co_u32_e64 v49, s[0:1], v14, v6, s[0:1]
	v_lshlrev_b64 v[5:6], 3, v[8:9]
	v_mad_u64_u32 v[7:8], s[0:1], s21, v44, v[0:1]
	v_add_u32_e32 v45, 0xf0, v40
	v_mad_u64_u32 v[8:9], s[0:1], s20, v45, 0
	v_add_co_u32_e64 v50, s[0:1], v13, v5
	v_mov_b32_e32 v11, v7
	v_mov_b32_e32 v0, v9
	v_addc_co_u32_e64 v51, s[0:1], v14, v6, s[0:1]
	v_lshlrev_b64 v[5:6], 3, v[10:11]
	v_mad_u64_u32 v[9:10], s[0:1], s21, v45, v[0:1]
	v_add_u32_e32 v7, 0x120, v40
	v_mad_u64_u32 v[10:11], s[0:1], s20, v7, 0
	v_add_co_u32_e64 v52, s[0:1], v13, v5
	v_mov_b32_e32 v0, v11
	v_addc_co_u32_e64 v53, s[0:1], v14, v6, s[0:1]
	v_lshlrev_b64 v[5:6], 3, v[8:9]
	v_mad_u64_u32 v[7:8], s[0:1], s21, v7, v[0:1]
	v_add_u32_e32 v12, 0x150, v40
	v_mad_u64_u32 v[8:9], s[0:1], s20, v12, 0
	v_add_co_u32_e64 v54, s[0:1], v13, v5
	v_mov_b32_e32 v11, v7
	v_mov_b32_e32 v0, v9
	v_addc_co_u32_e64 v55, s[0:1], v14, v6, s[0:1]
	v_lshlrev_b64 v[5:6], 3, v[10:11]
	v_mad_u64_u32 v[9:10], s[0:1], s21, v12, v[0:1]
	v_or_b32_e32 v7, 0x180, v40
	v_mad_u64_u32 v[10:11], s[0:1], s20, v7, 0
	v_add_co_u32_e64 v56, s[0:1], v13, v5
	v_mov_b32_e32 v0, v11
	v_addc_co_u32_e64 v57, s[0:1], v14, v6, s[0:1]
	v_lshlrev_b64 v[5:6], 3, v[8:9]
	v_mad_u64_u32 v[7:8], s[0:1], s21, v7, v[0:1]
	v_add_u32_e32 v12, 0x1b0, v40
	v_mad_u64_u32 v[8:9], s[0:1], s20, v12, 0
	v_add_co_u32_e64 v58, s[0:1], v13, v5
	v_mov_b32_e32 v11, v7
	v_mov_b32_e32 v0, v9
	v_addc_co_u32_e64 v59, s[0:1], v14, v6, s[0:1]
	v_lshlrev_b64 v[5:6], 3, v[10:11]
	v_mad_u64_u32 v[9:10], s[0:1], s21, v12, v[0:1]
	v_add_u32_e32 v7, 0x1e0, v40
	v_mad_u64_u32 v[10:11], s[0:1], s20, v7, 0
	v_add_co_u32_e64 v60, s[0:1], v13, v5
	v_mov_b32_e32 v0, v11
	v_addc_co_u32_e64 v61, s[0:1], v14, v6, s[0:1]
	v_lshlrev_b64 v[5:6], 3, v[8:9]
	v_mad_u64_u32 v[7:8], s[0:1], s21, v7, v[0:1]
	v_add_u32_e32 v12, 0x210, v40
	v_mad_u64_u32 v[8:9], s[0:1], s20, v12, 0
	v_add_co_u32_e64 v62, s[0:1], v13, v5
	v_mov_b32_e32 v11, v7
	v_mov_b32_e32 v0, v9
	v_addc_co_u32_e64 v63, s[0:1], v14, v6, s[0:1]
	v_lshlrev_b64 v[5:6], 3, v[10:11]
	v_mad_u64_u32 v[9:10], s[0:1], s21, v12, v[0:1]
	v_or_b32_e32 v7, 0x240, v40
	v_mad_u64_u32 v[10:11], s[0:1], s20, v7, 0
	v_add_co_u32_e64 v64, s[0:1], v13, v5
	v_mov_b32_e32 v0, v11
	v_addc_co_u32_e64 v65, s[0:1], v14, v6, s[0:1]
	v_lshlrev_b64 v[5:6], 3, v[8:9]
	v_mad_u64_u32 v[7:8], s[0:1], s21, v7, v[0:1]
	v_add_u32_e32 v12, 0x270, v40
	v_mad_u64_u32 v[8:9], s[0:1], s20, v12, 0
	v_add_co_u32_e64 v66, s[0:1], v13, v5
	v_mov_b32_e32 v11, v7
	v_mov_b32_e32 v0, v9
	v_addc_co_u32_e64 v67, s[0:1], v14, v6, s[0:1]
	v_lshlrev_b64 v[5:6], 3, v[10:11]
	v_mad_u64_u32 v[9:10], s[0:1], s21, v12, v[0:1]
	v_add_u32_e32 v7, 0x2a0, v40
	v_mad_u64_u32 v[10:11], s[0:1], s20, v7, 0
	v_add_co_u32_e64 v68, s[0:1], v13, v5
	v_mov_b32_e32 v0, v11
	v_addc_co_u32_e64 v69, s[0:1], v14, v6, s[0:1]
	v_lshlrev_b64 v[5:6], 3, v[8:9]
	v_mad_u64_u32 v[7:8], s[0:1], s21, v7, v[0:1]
	v_add_u32_e32 v12, 0x2d0, v40
	v_mad_u64_u32 v[8:9], s[0:1], s20, v12, 0
	v_add_co_u32_e64 v70, s[0:1], v13, v5
	v_mov_b32_e32 v11, v7
	v_mov_b32_e32 v0, v9
	v_addc_co_u32_e64 v71, s[0:1], v14, v6, s[0:1]
	v_lshlrev_b64 v[5:6], 3, v[10:11]
	v_mad_u64_u32 v[9:10], s[0:1], s21, v12, v[0:1]
	v_add_co_u32_e64 v72, s[0:1], v13, v5
	v_addc_co_u32_e64 v73, s[0:1], v14, v6, s[0:1]
	v_lshlrev_b64 v[5:6], 3, v[8:9]
	v_mov_b32_e32 v39, v40
	v_add_co_u32_e64 v74, s[0:1], v13, v5
	v_addc_co_u32_e64 v75, s[0:1], v14, v6, s[0:1]
	global_load_dwordx2 v[6:7], v[33:34], off
	global_load_dwordx2 v[25:26], v[46:47], off
	global_load_dwordx2 v[35:36], v[48:49], off
	global_load_dwordx2 v[21:22], v[50:51], off
	global_load_dwordx2 v[11:12], v[52:53], off
	global_load_dwordx2 v[27:28], v[54:55], off
	global_load_dwordx2 v[37:38], v[56:57], off
	global_load_dwordx2 v[23:24], v[58:59], off
	global_load_dwordx2 v[9:10], v[60:61], off
	global_load_dwordx2 v[15:16], v[62:63], off
	global_load_dwordx2 v[19:20], v[64:65], off
	global_load_dwordx2 v[13:14], v[66:67], off
	global_load_dwordx2 v[31:32], v[68:69], off
	global_load_dwordx2 v[17:18], v[70:71], off
	global_load_dwordx2 v[29:30], v[72:73], off
                                        ; kill: killed $vgpr70 killed $vgpr71
                                        ; kill: killed $vgpr50 killed $vgpr51
                                        ; kill: killed $vgpr60 killed $vgpr61
                                        ; kill: killed $vgpr33 killed $vgpr34
                                        ; kill: killed $vgpr64 killed $vgpr65
                                        ; kill: killed $vgpr48 killed $vgpr49
                                        ; kill: killed $vgpr68 killed $vgpr69
                                        ; kill: killed $vgpr54 killed $vgpr55
                                        ; kill: killed $vgpr46 killed $vgpr47
                                        ; kill: killed $vgpr72 killed $vgpr73
                                        ; kill: killed $vgpr62 killed $vgpr63
                                        ; kill: killed $vgpr56 killed $vgpr57
                                        ; kill: killed $vgpr52 killed $vgpr53
                                        ; kill: killed $vgpr66 killed $vgpr67
                                        ; kill: killed $vgpr58 killed $vgpr59
	global_load_dwordx2 v[33:34], v[74:75], off
.LBB0_13:
	s_or_b64 exec, exec, s[6:7]
	s_waitcnt vmcnt(7)
	v_sub_f32_e32 v0, v6, v9
	s_waitcnt vmcnt(3)
	v_sub_f32_e32 v8, v11, v31
	v_sub_f32_e32 v9, v12, v32
	;; [unrolled: 1-line block ×4, first 2 shown]
	s_waitcnt vmcnt(1)
	v_sub_f32_e32 v29, v37, v29
	v_sub_f32_e32 v30, v38, v30
	v_sub_f32_e32 v15, v25, v15
	v_sub_f32_e32 v16, v26, v16
	v_sub_f32_e32 v17, v27, v17
	v_sub_f32_e32 v18, v28, v18
	v_fma_f32 v5, v6, 2.0, -v0
	v_fma_f32 v6, v11, 2.0, -v8
	;; [unrolled: 1-line block ×10, first 2 shown]
	s_waitcnt vmcnt(0)
	v_sub_f32_e32 v28, v24, v34
	v_add_f32_e32 v34, v0, v9
	v_add_f32_e32 v46, v19, v30
	v_sub_f32_e32 v13, v21, v13
	v_sub_f32_e32 v27, v23, v33
	v_fma_f32 v0, v0, 2.0, -v34
	v_sub_f32_e32 v47, v20, v29
	v_fma_f32 v50, v19, 2.0, -v46
	v_sub_f32_e32 v19, v36, v26
	v_add_f32_e32 v18, v15, v18
	v_sub_f32_e32 v14, v22, v14
	v_fma_f32 v21, v21, 2.0, -v13
	v_fma_f32 v23, v23, 2.0, -v27
	;; [unrolled: 1-line block ×4, first 2 shown]
	v_sub_f32_e32 v17, v16, v17
	v_fma_f32 v15, v15, 2.0, -v18
	v_add_f32_e32 v36, v13, v28
	v_mov_b32_e32 v57, v0
	v_fma_f32 v24, v24, 2.0, -v28
	v_fma_f32 v16, v16, 2.0, -v17
	v_sub_f32_e32 v23, v21, v23
	v_sub_f32_e32 v30, v14, v27
	v_fma_f32 v13, v13, 2.0, -v36
	v_mov_b32_e32 v26, v15
	v_mov_b32_e32 v28, v18
	v_fmac_f32_e32 v57, 0xbf3504f3, v50
	v_fma_f32 v22, v22, 2.0, -v14
	v_sub_f32_e32 v33, v5, v6
	v_sub_f32_e32 v25, v31, v32
	v_fma_f32 v21, v21, 2.0, -v23
	v_fma_f32 v14, v14, 2.0, -v30
	v_fmac_f32_e32 v26, 0xbf3504f3, v13
	v_mov_b32_e32 v27, v16
	v_fmac_f32_e32 v28, 0x3f3504f3, v36
	v_mov_b32_e32 v29, v17
	v_fmac_f32_e32 v57, 0x3f3504f3, v55
	v_sub_f32_e32 v52, v11, v35
	v_fma_f32 v5, v5, 2.0, -v33
	v_fma_f32 v6, v31, 2.0, -v25
	v_fmac_f32_e32 v27, 0xbf3504f3, v14
	v_fmac_f32_e32 v26, 0x3f3504f3, v14
	;; [unrolled: 1-line block ×4, first 2 shown]
	v_fma_f32 v0, v0, 2.0, -v57
	v_sub_f32_e32 v30, v20, v21
	v_add_f32_e32 v21, v33, v52
	v_sub_f32_e32 v56, v5, v6
	v_fmac_f32_e32 v27, 0xbf3504f3, v13
	v_fma_f32 v6, v20, 2.0, -v30
	v_fma_f32 v31, v15, 2.0, -v26
	v_mov_b32_e32 v14, v0
	v_sub_f32_e32 v20, v22, v24
	v_fma_f32 v24, v33, 2.0, -v21
	v_mov_b32_e32 v33, v34
	v_fma_f32 v32, v16, 2.0, -v27
	v_fmac_f32_e32 v14, 0xbf6c835e, v31
	v_fmac_f32_e32 v33, 0x3f3504f3, v46
	v_fma_f32 v5, v5, 2.0, -v56
	v_fmac_f32_e32 v14, 0x3ec3ef15, v32
	v_fmac_f32_e32 v33, 0x3f3504f3, v47
	v_sub_f32_e32 v13, v5, v6
	v_fma_f32 v6, v0, 2.0, -v14
	v_sub_f32_e32 v0, v37, v38
	v_fma_f32 v34, v34, 2.0, -v33
	v_add_f32_e32 v35, v19, v20
	v_fmac_f32_e32 v29, 0xbf3504f3, v36
	v_sub_f32_e32 v23, v0, v23
	v_fma_f32 v36, v19, 2.0, -v35
	v_fma_f32 v49, v18, 2.0, -v28
	v_mov_b32_e32 v15, v24
	v_mov_b32_e32 v16, v34
	v_fma_f32 v51, v17, 2.0, -v29
	v_fmac_f32_e32 v15, 0xbf3504f3, v36
	v_fma_f32 v38, v0, 2.0, -v23
	v_fmac_f32_e32 v16, 0xbec3ef15, v49
	v_fmac_f32_e32 v15, 0x3f3504f3, v38
	;; [unrolled: 1-line block ×3, first 2 shown]
	v_fma_f32 v5, v5, 2.0, -v13
	v_fma_f32 v17, v24, 2.0, -v15
	v_fma_f32 v18, v34, 2.0, -v16
	v_lshl_add_u32 v48, v40, 6, 0
	ds_write2_b64 v48, v[5:6], v[17:18] offset1:1
	v_fma_f32 v53, v37, 2.0, -v0
	v_fma_f32 v0, v22, 2.0, -v20
	v_mov_b32_e32 v18, v57
	v_mov_b32_e32 v5, v21
	;; [unrolled: 1-line block ×3, first 2 shown]
	v_sub_f32_e32 v54, v53, v0
	v_fmac_f32_e32 v18, 0x3ec3ef15, v26
	v_fmac_f32_e32 v5, 0x3f3504f3, v35
	;; [unrolled: 1-line block ×3, first 2 shown]
	v_add_f32_e32 v17, v56, v54
	v_fmac_f32_e32 v18, 0x3f6c835e, v27
	v_fmac_f32_e32 v5, 0x3f3504f3, v23
	;; [unrolled: 1-line block ×3, first 2 shown]
	v_fma_f32 v19, v56, 2.0, -v17
	v_fma_f32 v20, v57, 2.0, -v18
	;; [unrolled: 1-line block ×4, first 2 shown]
	s_movk_i32 s0, 0xffc4
	ds_write2_b64 v48, v[19:20], v[21:22] offset0:2 offset1:3
	ds_write2_b64 v48, v[13:14], v[15:16] offset0:4 offset1:5
	v_mad_i32_i24 v13, v40, s0, v48
	v_lshl_add_u32 v0, v41, 2, 0
	s_load_dwordx2 s[4:5], s[4:5], 0x0
	v_mul_f32_e32 v61, 0x3f3504f3, v50
	v_mul_f32_e32 v59, 0x3f3504f3, v46
	;; [unrolled: 1-line block ×6, first 2 shown]
	ds_write2_b64 v48, v[17:18], v[5:6] offset0:6 offset1:7
	s_waitcnt lgkmcnt(0)
	; wave barrier
	s_waitcnt lgkmcnt(0)
	v_add_u32_e32 v15, 0x800, v13
	v_add_u32_e32 v16, 0x400, v13
	v_lshl_add_u32 v34, v42, 2, 0
	v_lshl_add_u32 v36, v43, 2, 0
	;; [unrolled: 1-line block ×3, first 2 shown]
	ds_read_b32 v47, v0
	ds_read_b32 v46, v34
	;; [unrolled: 1-line block ×4, first 2 shown]
	ds_read_b32 v50, v13 offset:2816
	ds_read2st64_b32 v[13:14], v13 offset1:4
	ds_read2_b32 v[23:24], v15 offset1:48
	ds_read2_b32 v[19:20], v15 offset0:96 offset1:144
	ds_read2_b32 v[21:22], v16 offset0:48 offset1:96
	;; [unrolled: 1-line block ×3, first 2 shown]
	v_mul_i32_i24_e32 v15, 0xffffffc4, v40
	v_mul_f32_e32 v62, 0x3f3504f3, v55
	v_mul_f32_e32 v55, 0x3f3504f3, v35
	v_cmp_gt_u32_e64 s[0:1], 16, v40
	v_add_u32_e32 v35, v48, v15
	v_lshl_add_u32 v33, v45, 2, 0
                                        ; implicit-def: $vgpr16
	s_and_saveexec_b64 s[6:7], s[0:1]
	s_cbranch_execz .LBB0_15
; %bb.14:
	v_add_u32_e32 v15, 0xc0, v35
	ds_read_b32 v6, v33
	ds_read2st64_b32 v[15:16], v15 offset0:7 offset1:11
.LBB0_15:
	s_or_b64 exec, exec, s[6:7]
	v_sub_f32_e32 v10, v7, v10
	v_fma_f32 v7, v7, 2.0, -v10
	v_fma_f32 v9, v12, 2.0, -v9
	v_sub_f32_e32 v9, v7, v9
	v_sub_f32_e32 v8, v10, v8
	v_fma_f32 v7, v7, 2.0, -v9
	v_fma_f32 v10, v10, 2.0, -v8
	;; [unrolled: 1-line block ×3, first 2 shown]
	v_sub_f32_e32 v45, v7, v11
	v_sub_f32_e32 v11, v10, v62
	;; [unrolled: 1-line block ×4, first 2 shown]
	v_fma_f32 v25, v9, 2.0, -v62
	v_add_f32_e32 v9, v8, v60
	v_fma_f32 v12, v10, 2.0, -v61
	v_sub_f32_e32 v59, v9, v59
	v_fma_f32 v8, v8, 2.0, -v59
	v_mov_b32_e32 v10, v12
	v_fmac_f32_e32 v10, 0xbf6c835e, v32
	v_mov_b32_e32 v32, v8
	v_fma_f32 v7, v7, 2.0, -v45
	v_fma_f32 v9, v53, 2.0, -v54
	v_fmac_f32_e32 v32, 0xbec3ef15, v51
	v_sub_f32_e32 v9, v7, v9
	v_fmac_f32_e32 v32, 0xbf6c835e, v49
	v_fma_f32 v11, v7, 2.0, -v9
	v_sub_f32_e32 v7, v25, v58
	v_fma_f32 v53, v8, 2.0, -v32
	v_mov_b32_e32 v58, v61
	v_mov_b32_e32 v8, v59
	v_fmac_f32_e32 v10, 0xbec3ef15, v31
	v_sub_f32_e32 v31, v7, v57
	v_fmac_f32_e32 v58, 0x3ec3ef15, v27
	v_add_f32_e32 v7, v62, v56
	v_fmac_f32_e32 v8, 0x3f6c835e, v29
	v_fma_f32 v12, v12, 2.0, -v10
	v_fma_f32 v52, v25, 2.0, -v31
	v_sub_f32_e32 v57, v45, v30
	v_fmac_f32_e32 v58, 0xbf6c835e, v26
	v_sub_f32_e32 v7, v7, v55
	v_fmac_f32_e32 v8, 0xbec3ef15, v28
	v_fma_f32 v25, v45, 2.0, -v57
	v_fma_f32 v26, v61, 2.0, -v58
	;; [unrolled: 1-line block ×4, first 2 shown]
	s_waitcnt lgkmcnt(0)
	; wave barrier
	s_waitcnt lgkmcnt(0)
	ds_write2_b64 v48, v[11:12], v[52:53] offset1:1
	ds_write2_b64 v48, v[25:26], v[27:28] offset0:2 offset1:3
	ds_write2_b64 v48, v[9:10], v[31:32] offset0:4 offset1:5
	;; [unrolled: 1-line block ×3, first 2 shown]
	v_add_u32_e32 v7, 0x800, v35
	v_add_u32_e32 v11, 0x400, v35
	s_waitcnt lgkmcnt(0)
	; wave barrier
	s_waitcnt lgkmcnt(0)
	ds_read2st64_b32 v[9:10], v35 offset1:4
	ds_read2_b32 v[31:32], v7 offset1:48
	ds_read2_b32 v[29:30], v11 offset0:48 offset1:96
	ds_read2_b32 v[27:28], v7 offset0:96 offset1:144
	;; [unrolled: 1-line block ×3, first 2 shown]
	ds_read_b32 v49, v0
	ds_read_b32 v48, v34
	;; [unrolled: 1-line block ×4, first 2 shown]
	ds_read_b32 v63, v35 offset:2816
                                        ; implicit-def: $vgpr26
	s_and_saveexec_b64 s[6:7], s[0:1]
	s_cbranch_execz .LBB0_17
; %bb.16:
	v_add_u32_e32 v25, 0xc0, v35
	ds_read_b32 v8, v33
	ds_read2st64_b32 v[25:26], v25 offset0:7 offset1:11
.LBB0_17:
	s_or_b64 exec, exec, s[6:7]
	v_lshlrev_b32_e32 v51, 4, v40
	v_and_b32_e32 v51, 0xf0, v51
	v_and_b32_e32 v71, 15, v40
	global_load_dwordx2 v[65:66], v51, s[12:13]
	global_load_dwordx2 v[67:68], v51, s[12:13] offset:8
	global_load_dwordx2 v[69:70], v51, s[12:13] offset:4
	global_load_dword v64, v51, s[12:13] offset:12
	v_lshlrev_b32_e32 v51, 4, v71
	global_load_dword v72, v51, s[12:13]
	s_waitcnt lgkmcnt(0)
	; wave barrier
	s_waitcnt vmcnt(4) lgkmcnt(0)
	v_mul_f32_e32 v54, v29, v66
	s_waitcnt vmcnt(3)
	v_mul_f32_e32 v56, v32, v68
	v_mul_f32_e32 v59, v10, v66
	;; [unrolled: 1-line block ×5, first 2 shown]
	s_waitcnt vmcnt(2)
	v_mul_f32_e32 v51, v25, v69
	v_mul_f32_e32 v69, v15, v69
	v_fmac_f32_e32 v56, v24, v70
	s_waitcnt vmcnt(0)
	v_fmac_f32_e32 v54, v21, v72
	v_mul_f32_e32 v74, v23, v68
	v_mul_f32_e32 v75, v21, v66
	;; [unrolled: 1-line block ×7, first 2 shown]
	v_fmac_f32_e32 v61, v23, v70
	v_fmac_f32_e32 v53, v22, v72
	;; [unrolled: 1-line block ×4, first 2 shown]
	v_fma_f32 v23, v25, v65, -v69
	v_add_f32_e32 v25, v54, v56
	v_mul_f32_e32 v73, v14, v66
	v_mul_f32_e32 v77, v22, v66
	;; [unrolled: 1-line block ×8, first 2 shown]
	v_fma_f32 v64, v31, v70, -v74
	v_fma_f32 v31, v32, v70, -v76
	;; [unrolled: 1-line block ×3, first 2 shown]
	v_fmac_f32_e32 v60, v20, v70
	v_fma_f32 v19, v28, v70, -v80
	v_fmac_f32_e32 v55, v17, v72
	v_fmac_f32_e32 v57, v18, v72
	;; [unrolled: 1-line block ×3, first 2 shown]
	v_add_f32_e32 v15, v59, v61
	v_add_f32_e32 v18, v47, v54
	;; [unrolled: 1-line block ×3, first 2 shown]
	v_fmac_f32_e32 v47, -0.5, v25
	v_fma_f32 v20, v27, v70, -v78
	v_fma_f32 v17, v10, v72, -v73
	;; [unrolled: 1-line block ×3, first 2 shown]
	v_fmac_f32_e32 v62, v50, v70
	v_fma_f32 v24, v26, v67, -v81
	v_add_f32_e32 v12, v13, v59
	v_sub_f32_e32 v26, v22, v31
	v_add_f32_e32 v27, v46, v53
	v_add_f32_e32 v32, v55, v60
	v_fmac_f32_e32 v13, -0.5, v15
	v_fmac_f32_e32 v46, -0.5, v28
	v_mov_b32_e32 v28, v47
	v_mul_f32_e32 v68, v50, v68
	v_fma_f32 v21, v30, v72, -v77
	v_fma_f32 v14, v11, v72, -v79
	v_fmac_f32_e32 v52, v16, v67
	v_sub_f32_e32 v16, v17, v64
	v_add_f32_e32 v30, v38, v55
	v_add_f32_e32 v15, v18, v56
	;; [unrolled: 1-line block ×3, first 2 shown]
	v_fmac_f32_e32 v38, -0.5, v32
	v_mov_b32_e32 v27, v13
	v_fmac_f32_e32 v47, 0x3f5db3d7, v26
	v_fmac_f32_e32 v28, 0xbf5db3d7, v26
	v_add_f32_e32 v26, v57, v62
	v_fma_f32 v11, v63, v70, -v68
	v_sub_f32_e32 v50, v14, v19
	v_fmac_f32_e32 v13, 0x3f5db3d7, v16
	v_mov_b32_e32 v32, v38
	v_fmac_f32_e32 v27, 0xbf5db3d7, v16
	v_add_f32_e32 v16, v5, v57
	v_fmac_f32_e32 v5, -0.5, v26
	v_fmac_f32_e32 v32, 0xbf5db3d7, v50
	v_fmac_f32_e32 v38, 0x3f5db3d7, v50
	v_sub_f32_e32 v26, v10, v11
	v_mov_b32_e32 v50, v5
	v_fmac_f32_e32 v50, 0xbf5db3d7, v26
	v_fmac_f32_e32 v5, 0x3f5db3d7, v26
	v_lshrrev_b32_e32 v26, 4, v40
	v_mul_u32_u24_e32 v26, 48, v26
	v_sub_f32_e32 v29, v21, v20
	v_add_f32_e32 v25, v30, v60
	v_mov_b32_e32 v30, v46
	v_or_b32_e32 v26, v26, v71
	v_add_f32_e32 v12, v12, v61
	v_fmac_f32_e32 v46, 0x3f5db3d7, v29
	v_fmac_f32_e32 v30, 0xbf5db3d7, v29
	v_lshrrev_b32_e32 v29, 4, v41
	v_lshl_add_u32 v26, v26, 2, 0
	v_mul_lo_u32 v29, v29, 48
	ds_write2_b32 v26, v12, v27 offset1:16
	ds_write_b32 v26, v13 offset:128
	v_lshrrev_b32_e32 v13, 4, v42
	v_mul_lo_u32 v13, v13, 48
	v_or_b32_e32 v12, v29, v71
	v_lshl_add_u32 v27, v12, 2, 0
	ds_write2_b32 v27, v15, v28 offset1:16
	ds_write_b32 v27, v47 offset:128
	v_or_b32_e32 v12, v13, v71
	v_lshrrev_b32_e32 v13, 4, v43
	v_mul_lo_u32 v13, v13, 48
	v_lshl_add_u32 v29, v12, 2, 0
	ds_write2_b32 v29, v18, v30 offset1:16
	ds_write_b32 v29, v46 offset:128
	v_add_f32_e32 v16, v16, v62
	v_or_b32_e32 v12, v13, v71
	v_lshrrev_b32_e32 v13, 4, v44
	v_mul_lo_u32 v13, v13, 48
	v_lshl_add_u32 v30, v12, 2, 0
	ds_write2_b32 v30, v25, v32 offset1:16
	ds_write_b32 v30, v38 offset:128
	v_lshl_add_u32 v28, v40, 2, 0
	v_or_b32_e32 v12, v13, v71
	v_lshl_add_u32 v32, v12, 2, 0
	ds_write2_b32 v32, v16, v50 offset1:16
	ds_write_b32 v32, v5 offset:128
	s_and_saveexec_b64 s[6:7], s[0:1]
	s_cbranch_execz .LBB0_19
; %bb.18:
	v_add_f32_e32 v5, v51, v52
	v_fma_f32 v5, -0.5, v5, v6
	v_sub_f32_e32 v12, v23, v24
	v_mov_b32_e32 v13, v5
	v_add_f32_e32 v6, v6, v51
	v_fmac_f32_e32 v13, 0x3f5db3d7, v12
	v_fmac_f32_e32 v5, 0xbf5db3d7, v12
	v_add_f32_e32 v6, v6, v52
	v_add_u32_e32 v12, 0x800, v28
	ds_write2_b32 v12, v6, v5 offset0:208 offset1:224
	ds_write_b32 v28, v13 offset:3008
.LBB0_19:
	s_or_b64 exec, exec, s[6:7]
	v_add_f32_e32 v5, v9, v17
	v_add_f32_e32 v38, v5, v64
	v_add_f32_e32 v5, v17, v64
	v_fmac_f32_e32 v9, -0.5, v5
	v_sub_f32_e32 v5, v59, v61
	v_mov_b32_e32 v41, v9
	v_fmac_f32_e32 v41, 0x3f5db3d7, v5
	v_fmac_f32_e32 v9, 0xbf5db3d7, v5
	v_add_f32_e32 v5, v49, v22
	v_add_f32_e32 v42, v5, v31
	v_add_f32_e32 v5, v22, v31
	v_fmac_f32_e32 v49, -0.5, v5
	v_sub_f32_e32 v5, v54, v56
	v_mov_b32_e32 v31, v49
	v_fmac_f32_e32 v31, 0x3f5db3d7, v5
	v_fmac_f32_e32 v49, 0xbf5db3d7, v5
	;; [unrolled: 8-line block ×4, first 2 shown]
	v_add_f32_e32 v5, v7, v10
	v_add_f32_e32 v50, v5, v11
	;; [unrolled: 1-line block ×3, first 2 shown]
	s_waitcnt lgkmcnt(0)
	; wave barrier
	s_waitcnt lgkmcnt(0)
	ds_read_b32 v20, v0
	ds_read_b32 v25, v34
	;; [unrolled: 1-line block ×6, first 2 shown]
	v_fmac_f32_e32 v7, -0.5, v5
	v_sub_f32_e32 v5, v57, v62
	v_mov_b32_e32 v53, v7
	v_fmac_f32_e32 v53, 0x3f5db3d7, v5
	v_fmac_f32_e32 v7, 0xbf5db3d7, v5
	v_add_u32_e32 v5, 0x400, v35
	v_add_u32_e32 v10, 0x600, v35
	;; [unrolled: 1-line block ×3, first 2 shown]
	ds_read2_b32 v[16:17], v5 offset0:32 offset1:80
	ds_read2_b32 v[5:6], v5 offset0:128 offset1:176
	;; [unrolled: 1-line block ×5, first 2 shown]
	s_waitcnt lgkmcnt(0)
	; wave barrier
	s_waitcnt lgkmcnt(0)
	ds_write2_b32 v26, v38, v41 offset1:16
	ds_write_b32 v26, v9 offset:128
	ds_write2_b32 v27, v42, v31 offset1:16
	ds_write_b32 v27, v49 offset:128
	;; [unrolled: 2-line block ×5, first 2 shown]
	s_and_saveexec_b64 s[6:7], s[0:1]
	s_cbranch_execz .LBB0_21
; %bb.20:
	v_add_f32_e32 v9, v23, v24
	v_add_f32_e32 v7, v8, v23
	v_fmac_f32_e32 v8, -0.5, v9
	v_sub_f32_e32 v9, v51, v52
	v_mov_b32_e32 v23, v8
	v_add_f32_e32 v7, v7, v24
	v_fmac_f32_e32 v23, 0x3f5db3d7, v9
	v_fmac_f32_e32 v8, 0xbf5db3d7, v9
	v_add_u32_e32 v9, 0x800, v28
	ds_write2_b32 v9, v7, v23 offset0:208 offset1:224
	ds_write_b32 v28, v8 offset:3008
.LBB0_21:
	s_or_b64 exec, exec, s[6:7]
	s_waitcnt lgkmcnt(0)
	; wave barrier
	s_waitcnt lgkmcnt(0)
	s_and_saveexec_b64 s[0:1], vcc
	s_cbranch_execz .LBB0_23
; %bb.22:
	v_mul_u32_u24_e32 v7, 15, v40
	v_lshlrev_b32_e32 v9, 3, v7
	global_load_dwordx4 v[26:29], v9, s[12:13] offset:256
	global_load_dwordx4 v[40:43], v9, s[12:13] offset:320
	;; [unrolled: 1-line block ×7, first 2 shown]
	global_load_dwordx2 v[7:8], v9, s[12:13] offset:368
	v_mul_lo_u32 v9, s5, v3
	v_mul_lo_u32 v38, s4, v4
	v_mad_u64_u32 v[3:4], s[0:1], s4, v3, 0
	v_add_u32_e32 v23, 0x600, v35
	v_add_u32_e32 v64, 0x400, v35
	;; [unrolled: 1-line block ×3, first 2 shown]
	ds_read_b32 v66, v37
	ds_read_b32 v67, v36
	;; [unrolled: 1-line block ×6, first 2 shown]
	ds_read2_b32 v[23:24], v23 offset0:96 offset1:144
	ds_read2_b32 v[30:31], v64 offset0:32 offset1:80
	;; [unrolled: 1-line block ×5, first 2 shown]
	v_add3_u32 v4, v4, v38, v9
	v_lshlrev_b64 v[3:4], 3, v[3:4]
	s_waitcnt vmcnt(7)
	v_mul_f32_e32 v9, v25, v29
	s_waitcnt vmcnt(6)
	v_mul_f32_e32 v38, v12, v43
	;; [unrolled: 2-line block ×3, first 2 shown]
	v_mul_f32_e32 v16, v16, v47
	s_waitcnt vmcnt(3)
	v_mul_f32_e32 v75, v17, v52
	v_mul_f32_e32 v17, v17, v53
	s_waitcnt lgkmcnt(8)
	v_mul_f32_e32 v29, v68, v29
	s_waitcnt lgkmcnt(4)
	v_mul_f32_e32 v43, v23, v43
	s_waitcnt vmcnt(2)
	v_mul_f32_e32 v74, v22, v57
	s_waitcnt vmcnt(1)
	v_mul_f32_e32 v76, v13, v61
	s_waitcnt lgkmcnt(3)
	v_fmac_f32_e32 v64, v30, v47
	v_fma_f32 v16, v30, v46, -v16
	v_fmac_f32_e32 v75, v31, v53
	v_fma_f32 v17, v31, v52, -v17
	s_waitcnt vmcnt(0)
	v_mul_f32_e32 v30, v15, v7
	v_mul_f32_e32 v31, v20, v27
	;; [unrolled: 1-line block ×4, first 2 shown]
	v_fma_f32 v23, v23, v42, -v38
	v_fma_f32 v38, v24, v60, -v76
	v_mul_f32_e32 v24, v24, v61
	v_fmac_f32_e32 v29, v25, v28
	v_fmac_f32_e32 v43, v12, v42
	v_fma_f32 v12, v67, v56, -v74
	s_waitcnt lgkmcnt(2)
	v_fmac_f32_e32 v30, v33, v8
	v_fma_f32 v25, v0, v26, -v31
	s_waitcnt lgkmcnt(1)
	v_fma_f32 v8, v35, v40, -v46
	v_fma_f32 v7, v33, v7, -v15
	v_sub_f32_e32 v33, v12, v38
	v_sub_f32_e32 v38, v25, v8
	v_fmac_f32_e32 v24, v13, v60
	v_sub_f32_e32 v13, v17, v7
	v_mul_f32_e32 v7, v21, v45
	v_mul_f32_e32 v8, v11, v49
	;; [unrolled: 1-line block ×3, first 2 shown]
	v_fma_f32 v21, v70, v44, -v7
	s_waitcnt lgkmcnt(0)
	v_fma_f32 v8, v37, v48, -v8
	v_fma_f32 v52, v68, v28, -v9
	v_mul_f32_e32 v9, v11, v48
	v_sub_f32_e32 v11, v21, v8
	v_mul_f32_e32 v8, v35, v41
	v_fmac_f32_e32 v8, v6, v40
	v_mul_f32_e32 v6, v19, v59
	v_mul_f32_e32 v72, v19, v58
	v_fma_f32 v19, v66, v58, -v6
	v_mul_f32_e32 v6, v10, v63
	v_fma_f32 v6, v36, v62, -v6
	v_mul_f32_e32 v65, v14, v50
	v_mul_f32_e32 v71, v5, v55
	;; [unrolled: 1-line block ×3, first 2 shown]
	v_sub_f32_e32 v10, v19, v6
	v_mul_f32_e32 v6, v34, v55
	v_mul_f32_e32 v14, v14, v51
	v_fmac_f32_e32 v65, v32, v51
	v_fma_f32 v51, v34, v54, -v71
	v_fmac_f32_e32 v6, v5, v54
	v_sub_f32_e32 v28, v69, v51
	v_sub_f32_e32 v5, v18, v6
	v_fmac_f32_e32 v73, v36, v63
	v_fma_f32 v14, v32, v50, -v14
	v_sub_f32_e32 v15, v52, v23
	v_sub_f32_e32 v23, v64, v65
	;; [unrolled: 1-line block ×3, first 2 shown]
	v_mul_f32_e32 v57, v67, v57
	v_add_f32_e32 v34, v5, v10
	v_fma_f32 v36, v69, 2.0, -v28
	v_fma_f32 v10, v19, 2.0, -v10
	v_fmac_f32_e32 v9, v37, v49
	v_fmac_f32_e32 v57, v22, v56
	v_sub_f32_e32 v37, v36, v10
	v_fma_f32 v29, v29, 2.0, -v32
	v_fma_f32 v10, v64, 2.0, -v23
	v_sub_f32_e32 v30, v75, v30
	v_sub_f32_e32 v43, v15, v23
	;; [unrolled: 1-line block ×3, first 2 shown]
	v_mul_f32_e32 v0, v0, v27
	v_sub_f32_e32 v23, v29, v10
	v_fma_f32 v25, v25, 2.0, -v38
	v_fma_f32 v10, v21, 2.0, -v11
	v_fmac_f32_e32 v72, v66, v59
	v_fmac_f32_e32 v47, v70, v45
	;; [unrolled: 1-line block ×3, first 2 shown]
	v_sub_f32_e32 v41, v25, v10
	v_fma_f32 v19, v57, 2.0, -v22
	v_fma_f32 v10, v75, 2.0, -v30
	v_sub_f32_e32 v31, v72, v73
	v_sub_f32_e32 v14, v16, v14
	v_sub_f32_e32 v42, v47, v9
	v_sub_f32_e32 v20, v0, v8
	v_sub_f32_e32 v21, v19, v10
	v_fma_f32 v44, v12, 2.0, -v33
	v_fma_f32 v10, v17, 2.0, -v13
	v_sub_f32_e32 v46, v28, v31
	v_add_f32_e32 v50, v32, v14
	v_sub_f32_e32 v60, v38, v42
	v_sub_f32_e32 v45, v44, v10
	v_fma_f32 v0, v0, 2.0, -v20
	v_fma_f32 v10, v47, 2.0, -v42
	v_sub_f32_e32 v51, v33, v30
	v_mov_b32_e32 v53, v46
	v_add_f32_e32 v26, v20, v11
	v_sub_f32_e32 v42, v0, v10
	v_fma_f32 v48, v52, 2.0, -v15
	v_fma_f32 v10, v16, 2.0, -v14
	;; [unrolled: 1-line block ×4, first 2 shown]
	v_fmac_f32_e32 v53, 0x3f3504f3, v43
	v_mov_b32_e32 v61, v60
	v_add_f32_e32 v24, v22, v13
	v_mov_b32_e32 v35, v34
	v_sub_f32_e32 v49, v48, v10
	v_fma_f32 v18, v18, 2.0, -v5
	v_fma_f32 v10, v72, 2.0, -v31
	;; [unrolled: 1-line block ×3, first 2 shown]
	v_mov_b32_e32 v33, v32
	v_fma_f32 v38, v20, 2.0, -v26
	v_fmac_f32_e32 v53, 0xbf3504f3, v50
	v_fmac_f32_e32 v61, 0x3f3504f3, v51
	v_mov_b32_e32 v27, v26
	v_fmac_f32_e32 v35, 0x3f3504f3, v50
	v_sub_f32_e32 v31, v18, v10
	v_fmac_f32_e32 v33, 0xbf3504f3, v17
	v_fma_f32 v22, v22, 2.0, -v24
	v_mov_b32_e32 v50, v38
	v_fmac_f32_e32 v61, 0xbf3504f3, v24
	v_fmac_f32_e32 v27, 0x3f3504f3, v24
	v_add_f32_e32 v52, v49, v31
	v_fmac_f32_e32 v33, 0xbf3504f3, v22
	v_fmac_f32_e32 v50, 0xbf3504f3, v22
	v_fma_f32 v20, v48, 2.0, -v49
	v_fma_f32 v49, v0, 2.0, -v42
	;; [unrolled: 1-line block ×4, first 2 shown]
	v_mov_b32_e32 v7, v53
	v_fmac_f32_e32 v27, 0x3f3504f3, v51
	v_fmac_f32_e32 v35, 0x3f3504f3, v43
	v_sub_f32_e32 v40, v37, v23
	v_sub_f32_e32 v55, v49, v0
	v_fma_f32 v0, v18, 2.0, -v31
	v_fma_f32 v18, v29, 2.0, -v23
	;; [unrolled: 1-line block ×3, first 2 shown]
	v_mov_b32_e32 v23, v22
	v_fmac_f32_e32 v7, 0x3f6c835e, v61
	v_mov_b32_e32 v6, v35
	v_fmac_f32_e32 v23, 0xbec3ef15, v24
	v_fma_f32 v26, v26, 2.0, -v27
	v_fmac_f32_e32 v7, 0xbec3ef15, v27
	v_fmac_f32_e32 v6, 0x3f6c835e, v27
	v_fmac_f32_e32 v23, 0xbf6c835e, v26
	v_fma_f32 v27, v34, 2.0, -v35
	v_fma_f32 v57, v25, 2.0, -v41
	;; [unrolled: 1-line block ×3, first 2 shown]
	v_mov_b32_e32 v22, v27
	v_fmac_f32_e32 v22, 0xbec3ef15, v26
	v_sub_f32_e32 v30, v41, v21
	v_add_f32_e32 v47, v45, v42
	v_mov_b32_e32 v10, v52
	v_fmac_f32_e32 v22, 0x3f6c835e, v24
	v_fma_f32 v26, v37, 2.0, -v40
	v_mov_b32_e32 v11, v40
	v_fmac_f32_e32 v10, 0x3f3504f3, v47
	v_fma_f32 v54, v28, 2.0, -v46
	v_fma_f32 v24, v27, 2.0, -v22
	;; [unrolled: 1-line block ×3, first 2 shown]
	v_mov_b32_e32 v27, v26
	v_fmac_f32_e32 v11, 0x3f3504f3, v30
	v_fmac_f32_e32 v10, 0x3f3504f3, v30
	;; [unrolled: 1-line block ×3, first 2 shown]
	v_fma_f32 v30, v42, 2.0, -v47
	v_fma_f32 v14, v15, 2.0, -v43
	v_mov_b32_e32 v43, v54
	v_fmac_f32_e32 v27, 0xbf3504f3, v30
	v_fma_f32 v31, v31, 2.0, -v52
	v_fmac_f32_e32 v43, 0xbf3504f3, v14
	v_fma_f32 v5, v5, 2.0, -v34
	v_fma_f32 v29, v26, 2.0, -v27
	v_mov_b32_e32 v26, v31
	v_fmac_f32_e32 v43, 0xbf3504f3, v16
	v_mov_b32_e32 v51, v5
	v_fmac_f32_e32 v26, 0xbf3504f3, v30
	v_fmac_f32_e32 v51, 0xbf3504f3, v16
	;; [unrolled: 1-line block ×3, first 2 shown]
	v_fma_f32 v30, v54, 2.0, -v43
	v_fmac_f32_e32 v50, 0x3f3504f3, v17
	v_fmac_f32_e32 v51, 0x3f3504f3, v14
	v_fma_f32 v28, v31, 2.0, -v26
	v_fma_f32 v32, v32, 2.0, -v33
	v_mov_b32_e32 v31, v30
	v_mov_b32_e32 v14, v51
	v_fmac_f32_e32 v31, 0xbf6c835e, v32
	v_fma_f32 v34, v38, 2.0, -v50
	v_mov_b32_e32 v15, v43
	v_fmac_f32_e32 v14, 0x3ec3ef15, v50
	v_fmac_f32_e32 v31, 0xbec3ef15, v34
	v_fma_f32 v5, v5, 2.0, -v51
	v_fmac_f32_e32 v6, 0x3ec3ef15, v61
	v_fmac_f32_e32 v15, 0x3ec3ef15, v33
	;; [unrolled: 1-line block ×3, first 2 shown]
	v_fma_f32 v33, v30, 2.0, -v31
	v_mov_b32_e32 v30, v5
	v_fma_f32 v8, v35, 2.0, -v6
	v_fma_f32 v36, v36, 2.0, -v37
	v_sub_f32_e32 v56, v0, v18
	v_fma_f32 v18, v44, 2.0, -v45
	v_fmac_f32_e32 v30, 0xbf6c835e, v34
	v_mad_u64_u32 v[34:35], s[0:1], s2, v39, 0
	v_sub_f32_e32 v48, v36, v20
	v_sub_f32_e32 v44, v57, v18
	v_fmac_f32_e32 v30, 0x3ec3ef15, v32
	v_fma_f32 v32, v5, 2.0, -v30
	v_fma_f32 v5, v36, 2.0, -v48
	;; [unrolled: 1-line block ×3, first 2 shown]
	v_sub_f32_e32 v37, v5, v36
	v_fma_f32 v41, v5, 2.0, -v37
	v_fma_f32 v5, v0, 2.0, -v56
	v_mov_b32_e32 v0, v35
	v_mad_u64_u32 v[35:36], s[0:1], s3, v39, v[0:1]
	v_fma_f32 v0, v49, 2.0, -v55
	v_fmac_f32_e32 v11, 0xbf3504f3, v47
	v_sub_f32_e32 v36, v5, v0
	v_fma_f32 v13, v40, 2.0, -v11
	v_fma_f32 v40, v5, 2.0, -v36
	v_mov_b32_e32 v0, s11
	v_add_co_u32_e32 v5, vcc, s10, v3
	v_add_u32_e32 v38, 48, v39
	v_addc_co_u32_e32 v4, vcc, v0, v4, vcc
	v_lshlrev_b64 v[0:1], 3, v[1:2]
	v_mad_u64_u32 v[2:3], s[0:1], s2, v38, 0
	v_fmac_f32_e32 v15, 0xbf6c835e, v50
	v_add_co_u32_e32 v42, vcc, v5, v0
	v_fma_f32 v17, v43, 2.0, -v15
	v_addc_co_u32_e32 v43, vcc, v4, v1, vcc
	v_lshlrev_b64 v[0:1], 3, v[34:35]
	v_mad_u64_u32 v[3:4], s[0:1], s3, v38, v[3:4]
	v_add_co_u32_e32 v0, vcc, v42, v0
	v_addc_co_u32_e32 v1, vcc, v43, v1, vcc
	v_add_u32_e32 v4, 0x60, v39
	global_store_dwordx2 v[0:1], v[40:41], off
	v_lshlrev_b64 v[0:1], 3, v[2:3]
	v_mad_u64_u32 v[2:3], s[0:1], s2, v4, 0
	v_add_u32_e32 v34, 0x90, v39
	v_add_co_u32_e32 v0, vcc, v42, v0
	v_mad_u64_u32 v[3:4], s[0:1], s3, v4, v[3:4]
	v_mad_u64_u32 v[4:5], s[0:1], s2, v34, 0
	v_addc_co_u32_e32 v1, vcc, v43, v1, vcc
	global_store_dwordx2 v[0:1], v[32:33], off
	v_lshlrev_b64 v[0:1], 3, v[2:3]
	v_mov_b32_e32 v2, v5
	v_mad_u64_u32 v[2:3], s[0:1], s3, v34, v[2:3]
	v_add_co_u32_e32 v0, vcc, v42, v0
	v_addc_co_u32_e32 v1, vcc, v43, v1, vcc
	v_mov_b32_e32 v5, v2
	global_store_dwordx2 v[0:1], v[28:29], off
	v_lshlrev_b64 v[0:1], 3, v[4:5]
	v_or_b32_e32 v4, 0xc0, v39
	v_mad_u64_u32 v[2:3], s[0:1], s2, v4, 0
	v_add_u32_e32 v28, 0xf0, v39
	v_add_co_u32_e32 v0, vcc, v42, v0
	v_mad_u64_u32 v[3:4], s[0:1], s3, v4, v[3:4]
	v_mad_u64_u32 v[4:5], s[0:1], s2, v28, 0
	v_addc_co_u32_e32 v1, vcc, v43, v1, vcc
	global_store_dwordx2 v[0:1], v[24:25], off
	v_lshlrev_b64 v[0:1], 3, v[2:3]
	v_mov_b32_e32 v2, v5
	v_mad_u64_u32 v[2:3], s[0:1], s3, v28, v[2:3]
	v_sub_f32_e32 v19, v48, v55
	v_add_f32_e32 v18, v56, v44
	v_add_co_u32_e32 v0, vcc, v42, v0
	v_fma_f32 v21, v48, 2.0, -v19
	v_fma_f32 v20, v56, 2.0, -v18
	v_addc_co_u32_e32 v1, vcc, v43, v1, vcc
	v_mov_b32_e32 v5, v2
	global_store_dwordx2 v[0:1], v[20:21], off
	v_lshlrev_b64 v[0:1], 3, v[4:5]
	v_add_u32_e32 v4, 0x120, v39
	v_mad_u64_u32 v[2:3], s[0:1], s2, v4, 0
	v_add_u32_e32 v20, 0x150, v39
	v_add_co_u32_e32 v0, vcc, v42, v0
	v_mad_u64_u32 v[3:4], s[0:1], s3, v4, v[3:4]
	v_mad_u64_u32 v[4:5], s[0:1], s2, v20, 0
	v_fma_f32 v16, v51, 2.0, -v14
	v_addc_co_u32_e32 v1, vcc, v43, v1, vcc
	global_store_dwordx2 v[0:1], v[16:17], off
	v_lshlrev_b64 v[0:1], 3, v[2:3]
	v_mov_b32_e32 v2, v5
	v_mad_u64_u32 v[2:3], s[0:1], s3, v20, v[2:3]
	v_add_co_u32_e32 v0, vcc, v42, v0
	v_fma_f32 v12, v52, 2.0, -v10
	v_addc_co_u32_e32 v1, vcc, v43, v1, vcc
	v_mov_b32_e32 v5, v2
	global_store_dwordx2 v[0:1], v[12:13], off
	v_lshlrev_b64 v[0:1], 3, v[4:5]
	v_or_b32_e32 v4, 0x180, v39
	v_mad_u64_u32 v[2:3], s[0:1], s2, v4, 0
	v_add_u32_e32 v12, 0x1b0, v39
	v_add_co_u32_e32 v0, vcc, v42, v0
	v_mad_u64_u32 v[3:4], s[0:1], s3, v4, v[3:4]
	v_mad_u64_u32 v[4:5], s[0:1], s2, v12, 0
	v_fma_f32 v9, v53, 2.0, -v7
	v_addc_co_u32_e32 v1, vcc, v43, v1, vcc
	global_store_dwordx2 v[0:1], v[8:9], off
	v_lshlrev_b64 v[0:1], 3, v[2:3]
	v_mov_b32_e32 v2, v5
	v_mad_u64_u32 v[2:3], s[0:1], s3, v12, v[2:3]
	v_add_co_u32_e32 v0, vcc, v42, v0
	v_addc_co_u32_e32 v1, vcc, v43, v1, vcc
	v_mov_b32_e32 v5, v2
	global_store_dwordx2 v[0:1], v[36:37], off
	v_lshlrev_b64 v[0:1], 3, v[4:5]
	v_add_u32_e32 v4, 0x1e0, v39
	v_mad_u64_u32 v[2:3], s[0:1], s2, v4, 0
	v_add_u32_e32 v8, 0x210, v39
	v_add_co_u32_e32 v0, vcc, v42, v0
	v_mad_u64_u32 v[3:4], s[0:1], s3, v4, v[3:4]
	v_mad_u64_u32 v[4:5], s[0:1], s2, v8, 0
	v_addc_co_u32_e32 v1, vcc, v43, v1, vcc
	global_store_dwordx2 v[0:1], v[30:31], off
	v_lshlrev_b64 v[0:1], 3, v[2:3]
	v_mov_b32_e32 v2, v5
	v_mad_u64_u32 v[2:3], s[0:1], s3, v8, v[2:3]
	v_add_co_u32_e32 v0, vcc, v42, v0
	v_addc_co_u32_e32 v1, vcc, v43, v1, vcc
	v_mov_b32_e32 v5, v2
	global_store_dwordx2 v[0:1], v[26:27], off
	v_lshlrev_b64 v[0:1], 3, v[4:5]
	v_or_b32_e32 v4, 0x240, v39
	v_mad_u64_u32 v[2:3], s[0:1], s2, v4, 0
	v_add_u32_e32 v8, 0x270, v39
	v_add_co_u32_e32 v0, vcc, v42, v0
	v_mad_u64_u32 v[3:4], s[0:1], s3, v4, v[3:4]
	v_mad_u64_u32 v[4:5], s[0:1], s2, v8, 0
	v_addc_co_u32_e32 v1, vcc, v43, v1, vcc
	global_store_dwordx2 v[0:1], v[22:23], off
	v_lshlrev_b64 v[0:1], 3, v[2:3]
	v_mov_b32_e32 v2, v5
	v_mad_u64_u32 v[2:3], s[0:1], s3, v8, v[2:3]
	v_add_co_u32_e32 v0, vcc, v42, v0
	v_addc_co_u32_e32 v1, vcc, v43, v1, vcc
	v_mov_b32_e32 v5, v2
	global_store_dwordx2 v[0:1], v[18:19], off
	v_lshlrev_b64 v[0:1], 3, v[4:5]
	v_add_u32_e32 v4, 0x2a0, v39
	v_mad_u64_u32 v[2:3], s[0:1], s2, v4, 0
	v_add_u32_e32 v8, 0x2d0, v39
	v_add_co_u32_e32 v0, vcc, v42, v0
	v_mad_u64_u32 v[3:4], s[0:1], s3, v4, v[3:4]
	v_mad_u64_u32 v[4:5], s[0:1], s2, v8, 0
	v_addc_co_u32_e32 v1, vcc, v43, v1, vcc
	global_store_dwordx2 v[0:1], v[14:15], off
	v_lshlrev_b64 v[0:1], 3, v[2:3]
	v_mov_b32_e32 v2, v5
	v_mad_u64_u32 v[2:3], s[0:1], s3, v8, v[2:3]
	v_add_co_u32_e32 v0, vcc, v42, v0
	v_addc_co_u32_e32 v1, vcc, v43, v1, vcc
	v_mov_b32_e32 v5, v2
	global_store_dwordx2 v[0:1], v[10:11], off
	v_lshlrev_b64 v[0:1], 3, v[4:5]
	v_add_co_u32_e32 v0, vcc, v42, v0
	v_addc_co_u32_e32 v1, vcc, v43, v1, vcc
	global_store_dwordx2 v[0:1], v[6:7], off
.LBB0_23:
	s_endpgm
	.section	.rodata,"a",@progbits
	.p2align	6, 0x0
	.amdhsa_kernel fft_rtc_back_len768_factors_16_3_16_wgs_48_tpt_48_halfLds_sp_op_CI_CI_sbrr_dirReg
		.amdhsa_group_segment_fixed_size 0
		.amdhsa_private_segment_fixed_size 0
		.amdhsa_kernarg_size 104
		.amdhsa_user_sgpr_count 6
		.amdhsa_user_sgpr_private_segment_buffer 1
		.amdhsa_user_sgpr_dispatch_ptr 0
		.amdhsa_user_sgpr_queue_ptr 0
		.amdhsa_user_sgpr_kernarg_segment_ptr 1
		.amdhsa_user_sgpr_dispatch_id 0
		.amdhsa_user_sgpr_flat_scratch_init 0
		.amdhsa_user_sgpr_private_segment_size 0
		.amdhsa_uses_dynamic_stack 0
		.amdhsa_system_sgpr_private_segment_wavefront_offset 0
		.amdhsa_system_sgpr_workgroup_id_x 1
		.amdhsa_system_sgpr_workgroup_id_y 0
		.amdhsa_system_sgpr_workgroup_id_z 0
		.amdhsa_system_sgpr_workgroup_info 0
		.amdhsa_system_vgpr_workitem_id 0
		.amdhsa_next_free_vgpr 82
		.amdhsa_next_free_sgpr 32
		.amdhsa_reserve_vcc 1
		.amdhsa_reserve_flat_scratch 0
		.amdhsa_float_round_mode_32 0
		.amdhsa_float_round_mode_16_64 0
		.amdhsa_float_denorm_mode_32 3
		.amdhsa_float_denorm_mode_16_64 3
		.amdhsa_dx10_clamp 1
		.amdhsa_ieee_mode 1
		.amdhsa_fp16_overflow 0
		.amdhsa_exception_fp_ieee_invalid_op 0
		.amdhsa_exception_fp_denorm_src 0
		.amdhsa_exception_fp_ieee_div_zero 0
		.amdhsa_exception_fp_ieee_overflow 0
		.amdhsa_exception_fp_ieee_underflow 0
		.amdhsa_exception_fp_ieee_inexact 0
		.amdhsa_exception_int_div_zero 0
	.end_amdhsa_kernel
	.text
.Lfunc_end0:
	.size	fft_rtc_back_len768_factors_16_3_16_wgs_48_tpt_48_halfLds_sp_op_CI_CI_sbrr_dirReg, .Lfunc_end0-fft_rtc_back_len768_factors_16_3_16_wgs_48_tpt_48_halfLds_sp_op_CI_CI_sbrr_dirReg
                                        ; -- End function
	.section	.AMDGPU.csdata,"",@progbits
; Kernel info:
; codeLenInByte = 7784
; NumSgprs: 36
; NumVgprs: 82
; ScratchSize: 0
; MemoryBound: 0
; FloatMode: 240
; IeeeMode: 1
; LDSByteSize: 0 bytes/workgroup (compile time only)
; SGPRBlocks: 4
; VGPRBlocks: 20
; NumSGPRsForWavesPerEU: 36
; NumVGPRsForWavesPerEU: 82
; Occupancy: 3
; WaveLimiterHint : 1
; COMPUTE_PGM_RSRC2:SCRATCH_EN: 0
; COMPUTE_PGM_RSRC2:USER_SGPR: 6
; COMPUTE_PGM_RSRC2:TRAP_HANDLER: 0
; COMPUTE_PGM_RSRC2:TGID_X_EN: 1
; COMPUTE_PGM_RSRC2:TGID_Y_EN: 0
; COMPUTE_PGM_RSRC2:TGID_Z_EN: 0
; COMPUTE_PGM_RSRC2:TIDIG_COMP_CNT: 0
	.type	__hip_cuid_52ad5dcf3b3acfe8,@object ; @__hip_cuid_52ad5dcf3b3acfe8
	.section	.bss,"aw",@nobits
	.globl	__hip_cuid_52ad5dcf3b3acfe8
__hip_cuid_52ad5dcf3b3acfe8:
	.byte	0                               ; 0x0
	.size	__hip_cuid_52ad5dcf3b3acfe8, 1

	.ident	"AMD clang version 19.0.0git (https://github.com/RadeonOpenCompute/llvm-project roc-6.4.0 25133 c7fe45cf4b819c5991fe208aaa96edf142730f1d)"
	.section	".note.GNU-stack","",@progbits
	.addrsig
	.addrsig_sym __hip_cuid_52ad5dcf3b3acfe8
	.amdgpu_metadata
---
amdhsa.kernels:
  - .args:
      - .actual_access:  read_only
        .address_space:  global
        .offset:         0
        .size:           8
        .value_kind:     global_buffer
      - .offset:         8
        .size:           8
        .value_kind:     by_value
      - .actual_access:  read_only
        .address_space:  global
        .offset:         16
        .size:           8
        .value_kind:     global_buffer
      - .actual_access:  read_only
        .address_space:  global
        .offset:         24
        .size:           8
        .value_kind:     global_buffer
      - .actual_access:  read_only
        .address_space:  global
        .offset:         32
        .size:           8
        .value_kind:     global_buffer
      - .offset:         40
        .size:           8
        .value_kind:     by_value
      - .actual_access:  read_only
        .address_space:  global
        .offset:         48
        .size:           8
        .value_kind:     global_buffer
      - .actual_access:  read_only
        .address_space:  global
        .offset:         56
        .size:           8
        .value_kind:     global_buffer
      - .offset:         64
        .size:           4
        .value_kind:     by_value
      - .actual_access:  read_only
        .address_space:  global
        .offset:         72
        .size:           8
        .value_kind:     global_buffer
      - .actual_access:  read_only
        .address_space:  global
        .offset:         80
        .size:           8
        .value_kind:     global_buffer
      - .actual_access:  read_only
        .address_space:  global
        .offset:         88
        .size:           8
        .value_kind:     global_buffer
      - .actual_access:  write_only
        .address_space:  global
        .offset:         96
        .size:           8
        .value_kind:     global_buffer
    .group_segment_fixed_size: 0
    .kernarg_segment_align: 8
    .kernarg_segment_size: 104
    .language:       OpenCL C
    .language_version:
      - 2
      - 0
    .max_flat_workgroup_size: 48
    .name:           fft_rtc_back_len768_factors_16_3_16_wgs_48_tpt_48_halfLds_sp_op_CI_CI_sbrr_dirReg
    .private_segment_fixed_size: 0
    .sgpr_count:     36
    .sgpr_spill_count: 0
    .symbol:         fft_rtc_back_len768_factors_16_3_16_wgs_48_tpt_48_halfLds_sp_op_CI_CI_sbrr_dirReg.kd
    .uniform_work_group_size: 1
    .uses_dynamic_stack: false
    .vgpr_count:     82
    .vgpr_spill_count: 0
    .wavefront_size: 64
amdhsa.target:   amdgcn-amd-amdhsa--gfx906
amdhsa.version:
  - 1
  - 2
...

	.end_amdgpu_metadata
